;; amdgpu-corpus repo=ROCm/rocFFT kind=compiled arch=gfx906 opt=O3
	.text
	.amdgcn_target "amdgcn-amd-amdhsa--gfx906"
	.amdhsa_code_object_version 6
	.protected	bluestein_single_fwd_len126_dim1_sp_op_CI_CI ; -- Begin function bluestein_single_fwd_len126_dim1_sp_op_CI_CI
	.globl	bluestein_single_fwd_len126_dim1_sp_op_CI_CI
	.p2align	8
	.type	bluestein_single_fwd_len126_dim1_sp_op_CI_CI,@function
bluestein_single_fwd_len126_dim1_sp_op_CI_CI: ; @bluestein_single_fwd_len126_dim1_sp_op_CI_CI
; %bb.0:
	v_mul_u32_u24_e32 v1, 0x619, v0
	s_load_dwordx4 s[0:3], s[4:5], 0x28
	v_lshrrev_b32_e32 v1, 16, v1
	v_mad_u64_u32 v[30:31], s[6:7], s6, 6, v[1:2]
	v_mov_b32_e32 v31, 0
	s_waitcnt lgkmcnt(0)
	v_cmp_gt_u64_e32 vcc, s[0:1], v[30:31]
	s_and_saveexec_b64 s[0:1], vcc
	s_cbranch_execz .LBB0_23
; %bb.1:
	s_mov_b32 s0, 0xaaaaaaab
	v_mul_hi_u32 v2, v30, s0
	s_load_dwordx2 s[10:11], s[4:5], 0x0
	s_load_dwordx2 s[8:9], s[4:5], 0x38
	v_mul_lo_u16_e32 v1, 42, v1
	v_sub_u16_e32 v33, v0, v1
	v_lshrrev_b32_e32 v2, 2, v2
	v_mul_lo_u32 v2, v2, 6
	v_cmp_gt_u16_e32 vcc, 21, v33
	v_lshlrev_b32_e32 v34, 3, v33
	v_sub_u32_e32 v0, v30, v2
	v_mul_u32_u24_e32 v35, 0x7e, v0
	v_lshlrev_b32_e32 v36, 3, v35
	s_and_saveexec_b64 s[6:7], vcc
	s_cbranch_execz .LBB0_3
; %bb.2:
	s_load_dwordx2 s[0:1], s[4:5], 0x18
	v_lshl_add_u32 v26, v33, 3, v36
	v_add_u32_e32 v27, v36, v34
	s_waitcnt lgkmcnt(0)
	s_load_dwordx4 s[12:15], s[0:1], 0x0
	s_waitcnt lgkmcnt(0)
	v_mad_u64_u32 v[0:1], s[0:1], s14, v30, 0
	v_mad_u64_u32 v[2:3], s[0:1], s12, v33, 0
	;; [unrolled: 1-line block ×4, first 2 shown]
	v_mov_b32_e32 v1, v4
	v_lshlrev_b64 v[0:1], 3, v[0:1]
	v_mov_b32_e32 v3, v5
	v_mov_b32_e32 v6, s3
	v_lshlrev_b64 v[2:3], 3, v[2:3]
	v_add_co_u32_e64 v0, s[0:1], s2, v0
	v_addc_co_u32_e64 v1, s[0:1], v6, v1, s[0:1]
	v_add_co_u32_e64 v0, s[0:1], v0, v2
	v_addc_co_u32_e64 v1, s[0:1], v1, v3, s[0:1]
	s_mul_i32 s0, s13, 0xa8
	s_mul_hi_u32 s1, s12, 0xa8
	s_add_i32 s2, s1, s0
	s_mul_i32 s3, s12, 0xa8
	v_mov_b32_e32 v3, s2
	v_add_co_u32_e64 v2, s[0:1], s3, v0
	v_addc_co_u32_e64 v3, s[0:1], v1, v3, s[0:1]
	v_mov_b32_e32 v7, s2
	v_add_co_u32_e64 v6, s[0:1], s3, v2
	v_addc_co_u32_e64 v7, s[0:1], v3, v7, s[0:1]
	global_load_dwordx2 v[4:5], v34, s[10:11]
	global_load_dwordx2 v[8:9], v[0:1], off
	global_load_dwordx2 v[10:11], v[2:3], off
	v_mov_b32_e32 v1, s2
	v_add_co_u32_e64 v0, s[0:1], s3, v6
	v_addc_co_u32_e64 v1, s[0:1], v7, v1, s[0:1]
	global_load_dwordx2 v[2:3], v34, s[10:11] offset:168
	global_load_dwordx2 v[12:13], v34, s[10:11] offset:336
	;; [unrolled: 1-line block ×3, first 2 shown]
	global_load_dwordx2 v[16:17], v[6:7], off
	global_load_dwordx2 v[18:19], v[0:1], off
	v_mov_b32_e32 v6, s2
	v_add_co_u32_e64 v0, s[0:1], s3, v0
	v_addc_co_u32_e64 v1, s[0:1], v1, v6, s[0:1]
	v_mov_b32_e32 v22, s2
	global_load_dwordx2 v[6:7], v[0:1], off
	global_load_dwordx2 v[20:21], v34, s[10:11] offset:672
	v_add_co_u32_e64 v0, s[0:1], s3, v0
	v_addc_co_u32_e64 v1, s[0:1], v1, v22, s[0:1]
	global_load_dwordx2 v[22:23], v34, s[10:11] offset:840
	global_load_dwordx2 v[24:25], v[0:1], off
	s_waitcnt vmcnt(10)
	v_mul_f32_e32 v1, v8, v5
	v_mul_f32_e32 v0, v9, v5
	v_fma_f32 v1, v9, v4, -v1
	v_fmac_f32_e32 v0, v8, v4
	s_waitcnt vmcnt(8)
	v_mul_f32_e32 v4, v10, v3
	v_mul_f32_e32 v3, v11, v3
	v_fma_f32 v4, v11, v2, -v4
	v_fmac_f32_e32 v3, v10, v2
	s_waitcnt vmcnt(5)
	v_mul_f32_e32 v2, v16, v13
	v_mul_f32_e32 v8, v17, v13
	v_fma_f32 v9, v17, v12, -v2
	v_fmac_f32_e32 v8, v16, v12
	ds_write_b64 v26, v[0:1]
	s_waitcnt vmcnt(4)
	v_mul_f32_e32 v1, v18, v15
	v_mul_f32_e32 v0, v19, v15
	ds_write2_b64 v27, v[3:4], v[8:9] offset0:21 offset1:42
	s_waitcnt vmcnt(2)
	v_mul_f32_e32 v2, v7, v21
	v_mul_f32_e32 v3, v6, v21
	v_fma_f32 v1, v19, v14, -v1
	s_waitcnt vmcnt(0)
	v_mul_f32_e32 v4, v25, v23
	v_mul_f32_e32 v5, v24, v23
	v_fmac_f32_e32 v0, v18, v14
	v_fmac_f32_e32 v2, v6, v20
	v_fma_f32 v3, v7, v20, -v3
	v_fmac_f32_e32 v4, v24, v22
	v_fma_f32 v5, v25, v22, -v5
	ds_write2_b64 v27, v[0:1], v[2:3] offset0:63 offset1:84
	ds_write_b64 v27, v[4:5] offset:840
.LBB0_3:
	s_or_b64 exec, exec, s[6:7]
	s_waitcnt lgkmcnt(0)
	s_barrier
	s_waitcnt lgkmcnt(0)
                                        ; implicit-def: $vgpr6
                                        ; implicit-def: $vgpr10
                                        ; implicit-def: $vgpr2
	s_and_saveexec_b64 s[0:1], vcc
	s_cbranch_execz .LBB0_5
; %bb.4:
	v_lshl_add_u32 v8, v35, 3, v34
	ds_read2_b64 v[0:3], v8 offset1:21
	ds_read2_b64 v[4:7], v8 offset0:42 offset1:63
	ds_read2_b64 v[8:11], v8 offset0:84 offset1:105
.LBB0_5:
	s_or_b64 exec, exec, s[0:1]
	s_waitcnt lgkmcnt(1)
	v_add_f32_e32 v12, v4, v0
	s_waitcnt lgkmcnt(0)
	v_add_f32_e32 v18, v8, v12
	v_add_f32_e32 v12, v8, v4
	v_fmac_f32_e32 v0, -0.5, v12
	v_sub_f32_e32 v12, v5, v9
	v_mov_b32_e32 v19, v0
	v_fmac_f32_e32 v19, 0x3f5db3d7, v12
	v_fmac_f32_e32 v0, 0xbf5db3d7, v12
	v_add_f32_e32 v12, v5, v1
	v_add_f32_e32 v5, v9, v5
	v_fmac_f32_e32 v1, -0.5, v5
	v_sub_f32_e32 v4, v4, v8
	v_mov_b32_e32 v5, v1
	v_add_f32_e32 v8, v6, v10
	v_fmac_f32_e32 v5, 0xbf5db3d7, v4
	v_fmac_f32_e32 v1, 0x3f5db3d7, v4
	v_add_f32_e32 v4, v6, v2
	v_fmac_f32_e32 v2, -0.5, v8
	v_add_f32_e32 v21, v9, v12
	v_sub_f32_e32 v8, v7, v11
	v_mov_b32_e32 v9, v2
	v_fmac_f32_e32 v9, 0x3f5db3d7, v8
	v_fmac_f32_e32 v2, 0xbf5db3d7, v8
	v_add_f32_e32 v8, v7, v3
	v_add_f32_e32 v7, v7, v11
	v_fmac_f32_e32 v3, -0.5, v7
	v_sub_f32_e32 v6, v6, v10
	v_mov_b32_e32 v7, v3
	s_load_dwordx2 s[2:3], s[4:5], 0x8
	v_fmac_f32_e32 v7, 0xbf5db3d7, v6
	v_add_f32_e32 v4, v10, v4
	v_fmac_f32_e32 v3, 0x3f5db3d7, v6
	v_mul_f32_e32 v6, 0x3f5db3d7, v7
	v_mul_f32_e32 v10, -0.5, v2
	v_fmac_f32_e32 v6, 0.5, v9
	v_fmac_f32_e32 v10, 0x3f5db3d7, v3
	v_mul_f32_e32 v9, 0xbf5db3d7, v9
	v_mul_f32_e32 v3, -0.5, v3
	v_add_f32_e32 v8, v11, v8
	v_fmac_f32_e32 v9, 0.5, v7
	v_fmac_f32_e32 v3, 0xbf5db3d7, v2
	v_add_f32_e32 v12, v4, v18
	v_add_f32_e32 v14, v19, v6
	;; [unrolled: 1-line block ×6, first 2 shown]
	v_sub_f32_e32 v18, v18, v4
	v_sub_f32_e32 v20, v19, v6
	;; [unrolled: 1-line block ×6, first 2 shown]
	v_mul_lo_u16_e32 v39, 6, v33
	s_waitcnt lgkmcnt(0)
	s_barrier
	s_and_saveexec_b64 s[0:1], vcc
	s_cbranch_execz .LBB0_7
; %bb.6:
	v_add_lshl_u32 v0, v35, v39, 3
	ds_write_b128 v0, v[12:15]
	ds_write_b128 v0, v[16:19] offset:16
	ds_write_b128 v0, v[20:23] offset:32
.LBB0_7:
	s_or_b64 exec, exec, s[0:1]
	s_load_dwordx2 s[4:5], s[4:5], 0x20
	v_cmp_gt_u16_e64 s[0:1], 18, v33
	v_add_lshl_u32 v37, v35, v33, 3
	s_waitcnt lgkmcnt(0)
	s_barrier
	s_waitcnt lgkmcnt(0)
                                        ; implicit-def: $vgpr24
	s_and_saveexec_b64 s[6:7], s[0:1]
	s_cbranch_execz .LBB0_9
; %bb.8:
	ds_read2_b64 v[12:15], v37 offset1:18
	ds_read2_b64 v[16:19], v37 offset0:36 offset1:54
	ds_read2_b64 v[20:23], v37 offset0:72 offset1:90
	ds_read_b64 v[24:25], v37 offset:864
.LBB0_9:
	s_or_b64 exec, exec, s[6:7]
	s_movk_i32 s6, 0xab
	v_mul_lo_u16_sdwa v0, v33, s6 dst_sel:DWORD dst_unused:UNUSED_PAD src0_sel:BYTE_0 src1_sel:DWORD
	v_lshrrev_b16_e32 v28, 10, v0
	v_mul_lo_u16_e32 v0, 6, v28
	v_sub_u16_e32 v38, v33, v0
	v_mov_b32_e32 v0, 6
	v_mul_u32_u24_sdwa v0, v38, v0 dst_sel:DWORD dst_unused:UNUSED_PAD src0_sel:BYTE_0 src1_sel:DWORD
	v_lshlrev_b32_e32 v26, 3, v0
	global_load_dwordx4 v[0:3], v26, s[2:3]
	global_load_dwordx4 v[4:7], v26, s[2:3] offset:16
	global_load_dwordx4 v[8:11], v26, s[2:3] offset:32
	s_mov_b32 s6, 0x3f5ff5aa
	s_mov_b32 s7, 0x3f3bfb3b
	;; [unrolled: 1-line block ×3, first 2 shown]
	s_waitcnt vmcnt(0) lgkmcnt(0)
	s_barrier
	v_mul_f32_e32 v26, v17, v3
	v_mul_f32_e32 v27, v16, v3
	;; [unrolled: 1-line block ×12, first 2 shown]
	v_fma_f32 v16, v16, v2, -v26
	v_fmac_f32_e32 v27, v17, v2
	v_fma_f32 v17, v18, v4, -v29
	v_fmac_f32_e32 v31, v19, v4
	v_fma_f32 v18, v20, v6, -v32
	v_fma_f32 v19, v22, v8, -v41
	v_fmac_f32_e32 v42, v23, v8
	v_fma_f32 v20, v24, v10, -v43
	v_fmac_f32_e32 v44, v25, v10
	;; [unrolled: 2-line block ×3, first 2 shown]
	v_fmac_f32_e32 v40, v21, v6
	v_add_f32_e32 v15, v14, v20
	v_add_f32_e32 v21, v16, v19
	;; [unrolled: 1-line block ×6, first 2 shown]
	v_sub_f32_e32 v14, v14, v20
	v_sub_f32_e32 v20, v46, v44
	;; [unrolled: 1-line block ×6, first 2 shown]
	v_add_f32_e32 v26, v21, v15
	v_add_f32_e32 v27, v24, v23
	v_sub_f32_e32 v29, v21, v15
	v_sub_f32_e32 v21, v22, v21
	;; [unrolled: 1-line block ×4, first 2 shown]
	v_add_f32_e32 v32, v17, v16
	v_sub_f32_e32 v40, v17, v16
	v_add_f32_e32 v41, v18, v19
	v_sub_f32_e32 v42, v18, v19
	v_sub_f32_e32 v43, v19, v20
	;; [unrolled: 1-line block ×4, first 2 shown]
	v_add_f32_e32 v18, v22, v26
	v_add_f32_e32 v22, v25, v27
	v_sub_f32_e32 v16, v16, v14
	v_sub_f32_e32 v23, v23, v25
	;; [unrolled: 1-line block ×3, first 2 shown]
	v_add_f32_e32 v32, v32, v14
	v_add_f32_e32 v41, v41, v20
	v_mul_f32_e32 v14, 0xbf08b237, v40
	v_mul_f32_e32 v15, 0xbf08b237, v42
	;; [unrolled: 1-line block ×4, first 2 shown]
	v_add_f32_e32 v12, v12, v18
	v_add_f32_e32 v13, v13, v22
	v_mul_f32_e32 v26, 0x3f4a47b2, v19
	v_fma_f32 v19, v29, s7, -v20
	v_fma_f32 v20, v31, s7, -v25
	;; [unrolled: 1-line block ×4, first 2 shown]
	v_mov_b32_e32 v40, v12
	v_mov_b32_e32 v42, v13
	v_mul_f32_e32 v16, 0x3f5ff5aa, v16
	s_mov_b32 s6, 0xbeae86e6
	v_mul_f32_e32 v23, 0x3f4a47b2, v23
	v_fmac_f32_e32 v40, 0xbf955555, v18
	v_fmac_f32_e32 v42, 0xbf955555, v22
	v_fmac_f32_e32 v14, 0x3eae86e6, v17
	v_fma_f32 v16, v17, s6, -v16
	v_mul_f32_e32 v17, 0x3f5ff5aa, v43
	v_fma_f32 v29, v29, s12, -v26
	v_fmac_f32_e32 v26, 0x3d64c772, v21
	v_fma_f32 v31, v31, s12, -v23
	v_fmac_f32_e32 v25, 0x3ee1c552, v32
	v_fmac_f32_e32 v27, 0x3ee1c552, v41
	v_add_f32_e32 v21, v19, v40
	v_add_f32_e32 v22, v20, v42
	v_fmac_f32_e32 v23, 0x3d64c772, v24
	v_fmac_f32_e32 v15, 0x3eae86e6, v44
	v_fma_f32 v24, v44, s6, -v17
	v_sub_f32_e32 v18, v21, v27
	v_add_f32_e32 v19, v25, v22
	v_add_f32_e32 v20, v27, v21
	v_sub_f32_e32 v21, v22, v25
	v_add_f32_e32 v17, v26, v40
	v_add_f32_e32 v26, v29, v40
	;; [unrolled: 1-line block ×4, first 2 shown]
	v_fmac_f32_e32 v14, 0x3ee1c552, v32
	v_fmac_f32_e32 v16, 0x3ee1c552, v32
	;; [unrolled: 1-line block ×4, first 2 shown]
	v_sub_f32_e32 v22, v26, v24
	v_add_f32_e32 v23, v16, v27
	v_sub_f32_e32 v31, v17, v15
	v_add_f32_e32 v32, v14, v25
	v_mul_u32_u24_e32 v41, 42, v28
	s_and_saveexec_b64 s[6:7], s[0:1]
	s_cbranch_execz .LBB0_11
; %bb.10:
	v_sub_f32_e32 v27, v27, v16
	v_sub_f32_e32 v16, v25, v14
	v_add_u32_sdwa v14, v41, v38 dst_sel:DWORD dst_unused:UNUSED_PAD src0_sel:DWORD src1_sel:BYTE_0
	v_add_f32_e32 v15, v15, v17
	v_add_lshl_u32 v14, v35, v14, 3
	v_add_f32_e32 v26, v24, v26
	ds_write2_b64 v14, v[12:13], v[15:16] offset1:6
	ds_write2_b64 v14, v[26:27], v[18:19] offset0:12 offset1:18
	ds_write2_b64 v14, v[20:21], v[22:23] offset0:24 offset1:30
	ds_write_b64 v14, v[31:32] offset:288
.LBB0_11:
	s_or_b64 exec, exec, s[6:7]
	v_lshlrev_b32_e32 v12, 4, v33
	s_load_dwordx4 s[4:7], s[4:5], 0x0
	s_waitcnt lgkmcnt(0)
	s_barrier
	global_load_dwordx4 v[12:15], v12, s[2:3] offset:288
	ds_read2_b64 v[25:28], v37 offset1:42
	ds_read_b64 v[16:17], v37 offset:672
	v_lshl_add_u32 v40, v33, 3, v36
	s_waitcnt vmcnt(0) lgkmcnt(1)
	v_mul_f32_e32 v24, v28, v13
	v_mul_f32_e32 v29, v27, v13
	s_waitcnt lgkmcnt(0)
	v_mul_f32_e32 v42, v17, v15
	v_mul_f32_e32 v43, v16, v15
	v_fma_f32 v24, v27, v12, -v24
	v_fmac_f32_e32 v29, v28, v12
	v_fma_f32 v16, v16, v14, -v42
	v_fmac_f32_e32 v43, v17, v14
	v_add_f32_e32 v17, v25, v24
	v_add_f32_e32 v27, v24, v16
	v_sub_f32_e32 v28, v29, v43
	v_add_f32_e32 v42, v26, v29
	v_add_f32_e32 v29, v29, v43
	v_sub_f32_e32 v44, v24, v16
	v_add_f32_e32 v24, v17, v16
	v_fma_f32 v16, -0.5, v27, v25
	v_fma_f32 v17, -0.5, v29, v26
	v_mov_b32_e32 v26, v16
	v_mov_b32_e32 v27, v17
	v_add_f32_e32 v25, v42, v43
	v_fmac_f32_e32 v16, 0xbf5db3d7, v28
	v_fmac_f32_e32 v17, 0x3f5db3d7, v44
	;; [unrolled: 1-line block ×4, first 2 shown]
	ds_write_b64 v40, v[16:17] offset:672
	ds_write2_b64 v40, v[24:25], v[26:27] offset1:42
	s_waitcnt lgkmcnt(0)
	s_barrier
	s_and_saveexec_b64 s[2:3], vcc
	s_cbranch_execz .LBB0_13
; %bb.12:
	global_load_dwordx2 v[28:29], v34, s[10:11] offset:1008
	ds_read2_b64 v[42:45], v40 offset1:21
	s_add_u32 s12, s10, 0x3f0
	s_addc_u32 s13, s11, 0
	s_waitcnt vmcnt(0) lgkmcnt(0)
	v_mul_f32_e32 v46, v43, v29
	v_mul_f32_e32 v47, v42, v29
	v_fma_f32 v46, v42, v28, -v46
	v_fmac_f32_e32 v47, v43, v28
	global_load_dwordx2 v[28:29], v34, s[12:13] offset:168
	s_waitcnt vmcnt(0)
	v_mul_f32_e32 v42, v45, v29
	v_mul_f32_e32 v43, v44, v29
	v_fma_f32 v42, v44, v28, -v42
	v_fmac_f32_e32 v43, v45, v28
	global_load_dwordx2 v[28:29], v34, s[12:13] offset:336
	ds_write2_b64 v40, v[46:47], v[42:43] offset1:21
	ds_read2_b64 v[42:45], v40 offset0:42 offset1:63
	s_waitcnt vmcnt(0) lgkmcnt(0)
	v_mul_f32_e32 v46, v43, v29
	v_mul_f32_e32 v47, v42, v29
	v_fma_f32 v46, v42, v28, -v46
	v_fmac_f32_e32 v47, v43, v28
	global_load_dwordx2 v[28:29], v34, s[12:13] offset:504
	s_waitcnt vmcnt(0)
	v_mul_f32_e32 v42, v45, v29
	v_mul_f32_e32 v43, v44, v29
	v_fma_f32 v42, v44, v28, -v42
	v_fmac_f32_e32 v43, v45, v28
	global_load_dwordx2 v[28:29], v34, s[12:13] offset:672
	ds_write2_b64 v40, v[46:47], v[42:43] offset0:42 offset1:63
	ds_read2_b64 v[42:45], v40 offset0:84 offset1:105
	s_waitcnt vmcnt(0) lgkmcnt(0)
	v_mul_f32_e32 v46, v43, v29
	v_mul_f32_e32 v47, v42, v29
	v_fma_f32 v46, v42, v28, -v46
	v_fmac_f32_e32 v47, v43, v28
	global_load_dwordx2 v[28:29], v34, s[12:13] offset:840
	s_waitcnt vmcnt(0)
	v_mul_f32_e32 v42, v45, v29
	v_mul_f32_e32 v43, v44, v29
	v_fma_f32 v42, v44, v28, -v42
	v_fmac_f32_e32 v43, v45, v28
	ds_write2_b64 v40, v[46:47], v[42:43] offset0:84 offset1:105
.LBB0_13:
	s_or_b64 exec, exec, s[2:3]
	s_waitcnt lgkmcnt(0)
	s_barrier
	s_and_saveexec_b64 s[2:3], vcc
	s_cbranch_execz .LBB0_15
; %bb.14:
	ds_read2_b64 v[24:27], v40 offset1:21
	ds_read2_b64 v[16:19], v40 offset0:42 offset1:63
	ds_read2_b64 v[20:23], v40 offset0:84 offset1:105
.LBB0_15:
	s_or_b64 exec, exec, s[2:3]
	s_waitcnt lgkmcnt(0)
	v_add_f32_e32 v29, v20, v16
	v_add_f32_e32 v28, v16, v24
	v_fmac_f32_e32 v24, -0.5, v29
	v_sub_f32_e32 v29, v17, v21
	v_mov_b32_e32 v42, v24
	v_fmac_f32_e32 v42, 0xbf5db3d7, v29
	v_fmac_f32_e32 v24, 0x3f5db3d7, v29
	v_add_f32_e32 v29, v17, v25
	v_add_f32_e32 v17, v21, v17
	v_fmac_f32_e32 v25, -0.5, v17
	v_sub_f32_e32 v16, v16, v20
	v_mov_b32_e32 v43, v25
	v_fmac_f32_e32 v43, 0x3f5db3d7, v16
	v_fmac_f32_e32 v25, 0xbf5db3d7, v16
	v_add_f32_e32 v16, v18, v26
	v_add_f32_e32 v44, v22, v16
	;; [unrolled: 1-line block ×3, first 2 shown]
	v_fmac_f32_e32 v26, -0.5, v16
	v_add_f32_e32 v29, v21, v29
	v_sub_f32_e32 v16, v19, v23
	v_mov_b32_e32 v21, v26
	v_fmac_f32_e32 v21, 0xbf5db3d7, v16
	v_fmac_f32_e32 v26, 0x3f5db3d7, v16
	v_add_f32_e32 v16, v19, v27
	v_add_f32_e32 v45, v23, v16
	;; [unrolled: 1-line block ×3, first 2 shown]
	v_fmac_f32_e32 v27, -0.5, v16
	v_sub_f32_e32 v16, v18, v22
	v_mov_b32_e32 v19, v27
	v_fmac_f32_e32 v19, 0x3f5db3d7, v16
	v_fmac_f32_e32 v27, 0xbf5db3d7, v16
	v_mul_f32_e32 v23, 0xbf5db3d7, v19
	v_mul_f32_e32 v46, 0xbf5db3d7, v27
	v_mul_f32_e32 v47, 0.5, v19
	v_mul_f32_e32 v48, -0.5, v27
	v_add_f32_e32 v28, v20, v28
	v_fmac_f32_e32 v23, 0.5, v21
	v_fmac_f32_e32 v46, -0.5, v26
	v_fmac_f32_e32 v47, 0x3f5db3d7, v21
	v_fmac_f32_e32 v48, 0x3f5db3d7, v26
	v_add_f32_e32 v16, v44, v28
	v_add_f32_e32 v18, v42, v23
	;; [unrolled: 1-line block ×6, first 2 shown]
	v_sub_f32_e32 v22, v28, v44
	v_sub_f32_e32 v26, v42, v23
	;; [unrolled: 1-line block ×6, first 2 shown]
	s_barrier
	s_and_saveexec_b64 s[2:3], vcc
	s_cbranch_execz .LBB0_17
; %bb.16:
	v_lshl_add_u32 v24, v39, 3, v36
	ds_write_b128 v24, v[16:19]
	ds_write_b128 v24, v[20:23] offset:16
	ds_write_b128 v24, v[26:29] offset:32
.LBB0_17:
	s_or_b64 exec, exec, s[2:3]
	s_waitcnt lgkmcnt(0)
	s_barrier
	s_and_saveexec_b64 s[2:3], s[0:1]
	s_cbranch_execz .LBB0_19
; %bb.18:
	ds_read2_b64 v[16:19], v37 offset1:18
	ds_read2_b64 v[20:23], v37 offset0:36 offset1:54
	ds_read2_b64 v[26:29], v37 offset0:72 offset1:90
	ds_read_b64 v[31:32], v37 offset:864
.LBB0_19:
	s_or_b64 exec, exec, s[2:3]
	s_waitcnt lgkmcnt(0)
	s_barrier
	s_and_saveexec_b64 s[2:3], s[0:1]
	s_cbranch_execz .LBB0_21
; %bb.20:
	v_mul_f32_e32 v24, v1, v19
	v_mul_f32_e32 v25, v11, v32
	;; [unrolled: 1-line block ×4, first 2 shown]
	v_fmac_f32_e32 v24, v0, v18
	v_fmac_f32_e32 v25, v10, v31
	v_mul_f32_e32 v43, v5, v23
	v_fma_f32 v10, v10, v32, -v11
	v_fma_f32 v11, v0, v19, -v1
	v_mul_f32_e32 v0, v5, v22
	v_fmac_f32_e32 v43, v4, v22
	v_fma_f32 v4, v4, v23, -v0
	v_mul_f32_e32 v0, v7, v26
	v_fma_f32 v5, v6, v27, -v0
	v_add_f32_e32 v18, v10, v11
	v_add_f32_e32 v0, v4, v5
	v_mul_f32_e32 v42, v7, v27
	v_sub_f32_e32 v1, v18, v0
	v_fmac_f32_e32 v42, v6, v26
	v_mul_f32_e32 v6, 0x3f4a47b2, v1
	v_mul_f32_e32 v1, v9, v28
	;; [unrolled: 1-line block ×3, first 2 shown]
	v_fma_f32 v7, v8, v29, -v1
	v_mul_f32_e32 v1, v3, v20
	v_fmac_f32_e32 v46, v2, v20
	v_mul_f32_e32 v47, v9, v29
	v_fma_f32 v2, v2, v21, -v1
	v_fmac_f32_e32 v47, v8, v28
	v_add_f32_e32 v8, v7, v2
	v_sub_f32_e32 v1, v0, v8
	v_mov_b32_e32 v3, v6
	v_mul_f32_e32 v9, 0x3d64c772, v1
	v_fmac_f32_e32 v3, 0x3d64c772, v1
	v_add_f32_e32 v1, v8, v18
	v_add_f32_e32 v0, v0, v1
	;; [unrolled: 1-line block ×3, first 2 shown]
	v_mov_b32_e32 v17, v1
	v_fmac_f32_e32 v17, 0xbf955555, v0
	v_add_f32_e32 v20, v25, v24
	v_add_f32_e32 v0, v43, v42
	v_sub_f32_e32 v21, v20, v0
	v_mul_f32_e32 v21, 0x3f4a47b2, v21
	v_add_f32_e32 v22, v47, v46
	v_sub_f32_e32 v39, v24, v25
	v_sub_f32_e32 v23, v0, v22
	v_mov_b32_e32 v25, v21
	v_mul_f32_e32 v24, 0x3d64c772, v23
	v_fmac_f32_e32 v25, 0x3d64c772, v23
	v_add_f32_e32 v23, v22, v20
	v_add_f32_e32 v23, v0, v23
	;; [unrolled: 1-line block ×3, first 2 shown]
	v_sub_f32_e32 v48, v46, v47
	v_mov_b32_e32 v16, v0
	v_sub_f32_e32 v4, v5, v4
	v_sub_f32_e32 v7, v2, v7
	;; [unrolled: 1-line block ×3, first 2 shown]
	v_fmac_f32_e32 v16, 0xbf955555, v23
	v_sub_f32_e32 v10, v11, v10
	v_sub_f32_e32 v2, v4, v7
	;; [unrolled: 1-line block ×4, first 2 shown]
	v_add_f32_e32 v23, v25, v16
	v_sub_f32_e32 v11, v10, v4
	v_mul_f32_e32 v25, 0x3f08b237, v2
	v_add_f32_e32 v2, v4, v7
	v_mul_f32_e32 v4, 0xbf5ff5aa, v28
	s_mov_b32 s1, 0x3eae86e6
	v_sub_f32_e32 v8, v8, v18
	s_mov_b32 s12, 0xbf3bfb3b
	v_fma_f32 v29, v45, s1, -v4
	v_fma_f32 v4, v8, s12, -v6
	v_sub_f32_e32 v6, v22, v20
	v_add_f32_e32 v27, v2, v10
	v_add_f32_e32 v18, v4, v17
	v_fma_f32 v4, v6, s12, -v21
	v_sub_f32_e32 v10, v7, v10
	v_sub_f32_e32 v49, v44, v48
	v_add_f32_e32 v20, v4, v16
	v_mul_f32_e32 v4, 0xbf5ff5aa, v10
	v_mul_f32_e32 v49, 0x3f08b237, v49
	v_add_f32_e32 v44, v44, v48
	s_mov_b32 s0, 0xbf5ff5aa
	v_fma_f32 v21, v11, s1, -v4
	s_mov_b32 s1, 0x3f3bfb3b
	v_mov_b32_e32 v50, v49
	v_add_f32_e32 v44, v44, v39
	v_mov_b32_e32 v26, v25
	v_fma_f32 v7, v8, s1, -v9
	v_fma_f32 v9, v28, s0, -v49
	;; [unrolled: 1-line block ×4, first 2 shown]
	v_fmac_f32_e32 v50, 0xbeae86e6, v45
	v_fmac_f32_e32 v26, 0xbeae86e6, v11
	;; [unrolled: 1-line block ×3, first 2 shown]
	v_add_f32_e32 v8, v7, v17
	v_fmac_f32_e32 v9, 0xbee1c552, v44
	v_fmac_f32_e32 v10, 0xbee1c552, v27
	v_add_f32_e32 v11, v6, v16
	v_fmac_f32_e32 v50, 0xbee1c552, v44
	v_add_f32_e32 v19, v3, v17
	v_fmac_f32_e32 v26, 0xbee1c552, v27
	v_add_f32_e32 v5, v29, v18
	v_sub_f32_e32 v7, v8, v9
	v_add_f32_e32 v6, v10, v11
	v_add_f32_e32 v9, v9, v8
	v_sub_f32_e32 v8, v11, v10
	v_sub_f32_e32 v11, v18, v29
	v_add_u32_sdwa v18, v41, v38 dst_sel:DWORD dst_unused:UNUSED_PAD src0_sel:DWORD src1_sel:BYTE_0
	v_fmac_f32_e32 v21, 0xbee1c552, v27
	v_sub_f32_e32 v17, v19, v50
	v_add_f32_e32 v16, v26, v23
	v_lshl_add_u32 v18, v18, 3, v36
	v_add_f32_e32 v3, v50, v19
	v_sub_f32_e32 v2, v23, v26
	v_sub_f32_e32 v4, v20, v21
	v_add_f32_e32 v10, v21, v20
	ds_write2_b64 v18, v[0:1], v[16:17] offset1:6
	ds_write2_b64 v18, v[10:11], v[8:9] offset0:12 offset1:18
	ds_write2_b64 v18, v[6:7], v[4:5] offset0:24 offset1:30
	ds_write_b64 v18, v[2:3] offset:288
.LBB0_21:
	s_or_b64 exec, exec, s[2:3]
	s_waitcnt lgkmcnt(0)
	s_barrier
	ds_read2_b64 v[0:3], v37 offset1:42
	ds_read_b64 v[4:5], v37 offset:672
	s_waitcnt lgkmcnt(1)
	v_mul_f32_e32 v6, v13, v3
	s_waitcnt lgkmcnt(0)
	v_mul_f32_e32 v8, v15, v5
	v_fmac_f32_e32 v6, v12, v2
	v_mul_f32_e32 v2, v13, v2
	v_fmac_f32_e32 v8, v14, v4
	v_fma_f32 v7, v12, v3, -v2
	v_mul_f32_e32 v2, v15, v4
	v_add_f32_e32 v3, v6, v8
	v_fma_f32 v5, v14, v5, -v2
	v_add_f32_e32 v2, v0, v6
	v_fma_f32 v0, -0.5, v3, v0
	v_sub_f32_e32 v3, v7, v5
	v_mov_b32_e32 v4, v0
	v_fmac_f32_e32 v4, 0xbf5db3d7, v3
	v_fmac_f32_e32 v0, 0x3f5db3d7, v3
	v_add_f32_e32 v3, v1, v7
	v_add_f32_e32 v3, v3, v5
	;; [unrolled: 1-line block ×3, first 2 shown]
	v_fma_f32 v1, -0.5, v5, v1
	v_sub_f32_e32 v6, v6, v8
	v_mov_b32_e32 v5, v1
	v_add_f32_e32 v2, v2, v8
	v_fmac_f32_e32 v5, 0x3f5db3d7, v6
	v_fmac_f32_e32 v1, 0xbf5db3d7, v6
	ds_write2_b64 v40, v[2:3], v[4:5] offset1:42
	ds_write_b64 v40, v[0:1] offset:672
	s_waitcnt lgkmcnt(0)
	s_barrier
	s_and_b64 exec, exec, vcc
	s_cbranch_execz .LBB0_23
; %bb.22:
	global_load_dwordx2 v[8:9], v34, s[10:11]
	global_load_dwordx2 v[10:11], v34, s[10:11] offset:168
	global_load_dwordx2 v[12:13], v34, s[10:11] offset:336
	;; [unrolled: 1-line block ×5, first 2 shown]
	v_mad_u64_u32 v[18:19], s[0:1], s6, v30, 0
	v_mad_u64_u32 v[20:21], s[2:3], s4, v33, 0
	s_mul_i32 s2, s5, 0xa8
	s_mul_hi_u32 s3, s4, 0xa8
	s_add_i32 s6, s3, s2
	v_mad_u64_u32 v[28:29], s[2:3], s7, v30, v[19:20]
	v_mov_b32_e32 v31, s9
	v_lshl_add_u32 v26, v35, 3, v34
	v_mov_b32_e32 v19, v28
	v_lshlrev_b64 v[18:19], 3, v[18:19]
	s_mulk_i32 s4, 0xa8
	v_add_co_u32_e32 v18, vcc, s8, v18
	v_addc_co_u32_e32 v19, vcc, v31, v19, vcc
	ds_read2_b64 v[0:3], v26 offset0:21 offset1:42
	ds_read2_b64 v[4:7], v26 offset0:63 offset1:84
	ds_read_b64 v[24:25], v40
	ds_read_b64 v[26:27], v26 offset:840
	v_mov_b32_e32 v32, s6
	s_mov_b32 s0, 0x10410410
	s_mov_b32 s1, 0x3f804104
	s_waitcnt vmcnt(4) lgkmcnt(3)
	v_mul_f32_e32 v31, v1, v11
	v_mul_f32_e32 v11, v0, v11
	s_waitcnt vmcnt(2) lgkmcnt(2)
	v_mul_f32_e32 v34, v5, v15
	v_mul_f32_e32 v15, v4, v15
	s_waitcnt vmcnt(0)
	v_mad_u64_u32 v[29:30], s[2:3], s5, v33, v[21:22]
	v_mov_b32_e32 v30, s6
	v_mul_f32_e32 v35, v7, v17
	v_mov_b32_e32 v21, v29
	v_lshlrev_b64 v[20:21], 3, v[20:21]
	v_mul_f32_e32 v17, v6, v17
	v_add_co_u32_e32 v18, vcc, v18, v20
	v_addc_co_u32_e32 v19, vcc, v19, v21, vcc
	v_add_co_u32_e32 v20, vcc, s4, v18
	v_addc_co_u32_e32 v21, vcc, v19, v32, vcc
	;; [unrolled: 2-line block ×3, first 2 shown]
	s_waitcnt lgkmcnt(1)
	v_mul_f32_e32 v30, v25, v9
	v_mul_f32_e32 v9, v24, v9
	;; [unrolled: 1-line block ×4, first 2 shown]
	v_fmac_f32_e32 v30, v24, v8
	v_fma_f32 v8, v8, v25, -v9
	v_fmac_f32_e32 v31, v0, v10
	v_fma_f32 v9, v10, v1, -v11
	;; [unrolled: 2-line block ×3, first 2 shown]
	v_cvt_f64_f32_e32 v[0:1], v30
	v_cvt_f64_f32_e32 v[2:3], v8
	v_fmac_f32_e32 v34, v4, v14
	v_fma_f32 v14, v14, v5, -v15
	v_fmac_f32_e32 v35, v6, v16
	v_fma_f32 v24, v16, v7, -v17
	v_cvt_f64_f32_e32 v[4:5], v31
	v_cvt_f64_f32_e32 v[6:7], v9
	;; [unrolled: 1-line block ×4, first 2 shown]
	v_mul_f64 v[0:1], v[0:1], s[0:1]
	v_mul_f64 v[2:3], v[2:3], s[0:1]
	;; [unrolled: 1-line block ×4, first 2 shown]
	v_cvt_f64_f32_e32 v[12:13], v34
	v_cvt_f64_f32_e32 v[14:15], v14
	v_mul_f64 v[8:9], v[8:9], s[0:1]
	v_mul_f64 v[10:11], v[10:11], s[0:1]
	;; [unrolled: 1-line block ×4, first 2 shown]
	v_cvt_f32_f64_e32 v0, v[0:1]
	v_cvt_f32_f64_e32 v1, v[2:3]
	;; [unrolled: 1-line block ×6, first 2 shown]
	v_cvt_f64_f32_e32 v[16:17], v35
	global_store_dwordx2 v[18:19], v[0:1], off
	global_store_dwordx2 v[20:21], v[2:3], off
	;; [unrolled: 1-line block ×3, first 2 shown]
	v_cvt_f64_f32_e32 v[0:1], v24
	v_cvt_f32_f64_e32 v6, v[12:13]
	v_cvt_f32_f64_e32 v7, v[14:15]
	v_mov_b32_e32 v33, s6
	v_add_co_u32_e32 v2, vcc, s4, v28
	v_mul_f64 v[4:5], v[16:17], s[0:1]
	v_mul_f64 v[0:1], v[0:1], s[0:1]
	v_addc_co_u32_e32 v3, vcc, v29, v33, vcc
	global_store_dwordx2 v[2:3], v[6:7], off
	s_waitcnt lgkmcnt(0)
	v_mul_f32_e32 v6, v27, v23
	v_mul_f32_e32 v8, v26, v23
	v_fmac_f32_e32 v6, v26, v22
	v_fma_f32 v8, v22, v27, -v8
	v_cvt_f64_f32_e32 v[6:7], v6
	v_cvt_f64_f32_e32 v[8:9], v8
	v_cvt_f32_f64_e32 v4, v[4:5]
	v_cvt_f32_f64_e32 v5, v[0:1]
	v_mul_f64 v[0:1], v[6:7], s[0:1]
	v_mul_f64 v[6:7], v[8:9], s[0:1]
	v_mov_b32_e32 v8, s6
	v_add_co_u32_e32 v2, vcc, s4, v2
	v_addc_co_u32_e32 v3, vcc, v3, v8, vcc
	global_store_dwordx2 v[2:3], v[4:5], off
	v_cvt_f32_f64_e32 v0, v[0:1]
	v_cvt_f32_f64_e32 v1, v[6:7]
	v_mov_b32_e32 v4, s6
	v_add_co_u32_e32 v2, vcc, s4, v2
	v_addc_co_u32_e32 v3, vcc, v3, v4, vcc
	global_store_dwordx2 v[2:3], v[0:1], off
.LBB0_23:
	s_endpgm
	.section	.rodata,"a",@progbits
	.p2align	6, 0x0
	.amdhsa_kernel bluestein_single_fwd_len126_dim1_sp_op_CI_CI
		.amdhsa_group_segment_fixed_size 6048
		.amdhsa_private_segment_fixed_size 0
		.amdhsa_kernarg_size 104
		.amdhsa_user_sgpr_count 6
		.amdhsa_user_sgpr_private_segment_buffer 1
		.amdhsa_user_sgpr_dispatch_ptr 0
		.amdhsa_user_sgpr_queue_ptr 0
		.amdhsa_user_sgpr_kernarg_segment_ptr 1
		.amdhsa_user_sgpr_dispatch_id 0
		.amdhsa_user_sgpr_flat_scratch_init 0
		.amdhsa_user_sgpr_private_segment_size 0
		.amdhsa_uses_dynamic_stack 0
		.amdhsa_system_sgpr_private_segment_wavefront_offset 0
		.amdhsa_system_sgpr_workgroup_id_x 1
		.amdhsa_system_sgpr_workgroup_id_y 0
		.amdhsa_system_sgpr_workgroup_id_z 0
		.amdhsa_system_sgpr_workgroup_info 0
		.amdhsa_system_vgpr_workitem_id 0
		.amdhsa_next_free_vgpr 51
		.amdhsa_next_free_sgpr 16
		.amdhsa_reserve_vcc 1
		.amdhsa_reserve_flat_scratch 0
		.amdhsa_float_round_mode_32 0
		.amdhsa_float_round_mode_16_64 0
		.amdhsa_float_denorm_mode_32 3
		.amdhsa_float_denorm_mode_16_64 3
		.amdhsa_dx10_clamp 1
		.amdhsa_ieee_mode 1
		.amdhsa_fp16_overflow 0
		.amdhsa_exception_fp_ieee_invalid_op 0
		.amdhsa_exception_fp_denorm_src 0
		.amdhsa_exception_fp_ieee_div_zero 0
		.amdhsa_exception_fp_ieee_overflow 0
		.amdhsa_exception_fp_ieee_underflow 0
		.amdhsa_exception_fp_ieee_inexact 0
		.amdhsa_exception_int_div_zero 0
	.end_amdhsa_kernel
	.text
.Lfunc_end0:
	.size	bluestein_single_fwd_len126_dim1_sp_op_CI_CI, .Lfunc_end0-bluestein_single_fwd_len126_dim1_sp_op_CI_CI
                                        ; -- End function
	.section	.AMDGPU.csdata,"",@progbits
; Kernel info:
; codeLenInByte = 4252
; NumSgprs: 20
; NumVgprs: 51
; ScratchSize: 0
; MemoryBound: 0
; FloatMode: 240
; IeeeMode: 1
; LDSByteSize: 6048 bytes/workgroup (compile time only)
; SGPRBlocks: 2
; VGPRBlocks: 12
; NumSGPRsForWavesPerEU: 20
; NumVGPRsForWavesPerEU: 51
; Occupancy: 4
; WaveLimiterHint : 1
; COMPUTE_PGM_RSRC2:SCRATCH_EN: 0
; COMPUTE_PGM_RSRC2:USER_SGPR: 6
; COMPUTE_PGM_RSRC2:TRAP_HANDLER: 0
; COMPUTE_PGM_RSRC2:TGID_X_EN: 1
; COMPUTE_PGM_RSRC2:TGID_Y_EN: 0
; COMPUTE_PGM_RSRC2:TGID_Z_EN: 0
; COMPUTE_PGM_RSRC2:TIDIG_COMP_CNT: 0
	.type	__hip_cuid_fc8b0382091f4a04,@object ; @__hip_cuid_fc8b0382091f4a04
	.section	.bss,"aw",@nobits
	.globl	__hip_cuid_fc8b0382091f4a04
__hip_cuid_fc8b0382091f4a04:
	.byte	0                               ; 0x0
	.size	__hip_cuid_fc8b0382091f4a04, 1

	.ident	"AMD clang version 19.0.0git (https://github.com/RadeonOpenCompute/llvm-project roc-6.4.0 25133 c7fe45cf4b819c5991fe208aaa96edf142730f1d)"
	.section	".note.GNU-stack","",@progbits
	.addrsig
	.addrsig_sym __hip_cuid_fc8b0382091f4a04
	.amdgpu_metadata
---
amdhsa.kernels:
  - .args:
      - .actual_access:  read_only
        .address_space:  global
        .offset:         0
        .size:           8
        .value_kind:     global_buffer
      - .actual_access:  read_only
        .address_space:  global
        .offset:         8
        .size:           8
        .value_kind:     global_buffer
      - .actual_access:  read_only
        .address_space:  global
        .offset:         16
        .size:           8
        .value_kind:     global_buffer
      - .actual_access:  read_only
        .address_space:  global
        .offset:         24
        .size:           8
        .value_kind:     global_buffer
      - .actual_access:  read_only
        .address_space:  global
        .offset:         32
        .size:           8
        .value_kind:     global_buffer
      - .offset:         40
        .size:           8
        .value_kind:     by_value
      - .address_space:  global
        .offset:         48
        .size:           8
        .value_kind:     global_buffer
      - .address_space:  global
        .offset:         56
        .size:           8
        .value_kind:     global_buffer
      - .address_space:  global
        .offset:         64
        .size:           8
        .value_kind:     global_buffer
      - .address_space:  global
        .offset:         72
        .size:           8
        .value_kind:     global_buffer
      - .offset:         80
        .size:           4
        .value_kind:     by_value
      - .address_space:  global
        .offset:         88
        .size:           8
        .value_kind:     global_buffer
      - .address_space:  global
        .offset:         96
        .size:           8
        .value_kind:     global_buffer
    .group_segment_fixed_size: 6048
    .kernarg_segment_align: 8
    .kernarg_segment_size: 104
    .language:       OpenCL C
    .language_version:
      - 2
      - 0
    .max_flat_workgroup_size: 252
    .name:           bluestein_single_fwd_len126_dim1_sp_op_CI_CI
    .private_segment_fixed_size: 0
    .sgpr_count:     20
    .sgpr_spill_count: 0
    .symbol:         bluestein_single_fwd_len126_dim1_sp_op_CI_CI.kd
    .uniform_work_group_size: 1
    .uses_dynamic_stack: false
    .vgpr_count:     51
    .vgpr_spill_count: 0
    .wavefront_size: 64
amdhsa.target:   amdgcn-amd-amdhsa--gfx906
amdhsa.version:
  - 1
  - 2
...

	.end_amdgpu_metadata
